;; amdgpu-corpus repo=ROCm/rocFFT kind=compiled arch=gfx1201 opt=O3
	.text
	.amdgcn_target "amdgcn-amd-amdhsa--gfx1201"
	.amdhsa_code_object_version 6
	.protected	fft_rtc_back_len1280_factors_16_5_16_wgs_80_tpt_80_halfLds_dp_ip_CI_unitstride_sbrr_C2R_dirReg ; -- Begin function fft_rtc_back_len1280_factors_16_5_16_wgs_80_tpt_80_halfLds_dp_ip_CI_unitstride_sbrr_C2R_dirReg
	.globl	fft_rtc_back_len1280_factors_16_5_16_wgs_80_tpt_80_halfLds_dp_ip_CI_unitstride_sbrr_C2R_dirReg
	.p2align	8
	.type	fft_rtc_back_len1280_factors_16_5_16_wgs_80_tpt_80_halfLds_dp_ip_CI_unitstride_sbrr_C2R_dirReg,@function
fft_rtc_back_len1280_factors_16_5_16_wgs_80_tpt_80_halfLds_dp_ip_CI_unitstride_sbrr_C2R_dirReg: ; @fft_rtc_back_len1280_factors_16_5_16_wgs_80_tpt_80_halfLds_dp_ip_CI_unitstride_sbrr_C2R_dirReg
; %bb.0:
	s_clause 0x2
	s_load_b128 s[4:7], s[0:1], 0x0
	s_load_b64 s[8:9], s[0:1], 0x50
	s_load_b64 s[10:11], s[0:1], 0x18
	v_mul_u32_u24_e32 v1, 0x334, v0
	v_mov_b32_e32 v3, 0
	s_delay_alu instid0(VALU_DEP_2) | instskip(NEXT) | instid1(VALU_DEP_1)
	v_lshrrev_b32_e32 v1, 16, v1
	v_add_nc_u32_e32 v5, ttmp9, v1
	v_mov_b32_e32 v1, 0
	v_mov_b32_e32 v2, 0
	;; [unrolled: 1-line block ×3, first 2 shown]
	s_wait_kmcnt 0x0
	v_cmp_lt_u64_e64 s2, s[6:7], 2
	s_delay_alu instid0(VALU_DEP_1)
	s_and_b32 vcc_lo, exec_lo, s2
	s_cbranch_vccnz .LBB0_8
; %bb.1:
	s_load_b64 s[2:3], s[0:1], 0x10
	v_mov_b32_e32 v1, 0
	v_mov_b32_e32 v2, 0
	s_add_nc_u64 s[12:13], s[10:11], 8
	s_mov_b64 s[14:15], 1
	s_wait_kmcnt 0x0
	s_add_nc_u64 s[16:17], s[2:3], 8
	s_mov_b32 s3, 0
.LBB0_2:                                ; =>This Inner Loop Header: Depth=1
	s_load_b64 s[18:19], s[16:17], 0x0
                                        ; implicit-def: $vgpr7_vgpr8
	s_mov_b32 s2, exec_lo
	s_wait_kmcnt 0x0
	v_or_b32_e32 v4, s19, v6
	s_delay_alu instid0(VALU_DEP_1)
	v_cmpx_ne_u64_e32 0, v[3:4]
	s_wait_alu 0xfffe
	s_xor_b32 s20, exec_lo, s2
	s_cbranch_execz .LBB0_4
; %bb.3:                                ;   in Loop: Header=BB0_2 Depth=1
	s_cvt_f32_u32 s2, s18
	s_cvt_f32_u32 s21, s19
	s_sub_nc_u64 s[24:25], 0, s[18:19]
	s_wait_alu 0xfffe
	s_delay_alu instid0(SALU_CYCLE_1) | instskip(SKIP_1) | instid1(SALU_CYCLE_2)
	s_fmamk_f32 s2, s21, 0x4f800000, s2
	s_wait_alu 0xfffe
	v_s_rcp_f32 s2, s2
	s_delay_alu instid0(TRANS32_DEP_1) | instskip(SKIP_1) | instid1(SALU_CYCLE_2)
	s_mul_f32 s2, s2, 0x5f7ffffc
	s_wait_alu 0xfffe
	s_mul_f32 s21, s2, 0x2f800000
	s_wait_alu 0xfffe
	s_delay_alu instid0(SALU_CYCLE_2) | instskip(SKIP_1) | instid1(SALU_CYCLE_2)
	s_trunc_f32 s21, s21
	s_wait_alu 0xfffe
	s_fmamk_f32 s2, s21, 0xcf800000, s2
	s_cvt_u32_f32 s23, s21
	s_wait_alu 0xfffe
	s_delay_alu instid0(SALU_CYCLE_1) | instskip(SKIP_1) | instid1(SALU_CYCLE_2)
	s_cvt_u32_f32 s22, s2
	s_wait_alu 0xfffe
	s_mul_u64 s[26:27], s[24:25], s[22:23]
	s_wait_alu 0xfffe
	s_mul_hi_u32 s29, s22, s27
	s_mul_i32 s28, s22, s27
	s_mul_hi_u32 s2, s22, s26
	s_mul_i32 s30, s23, s26
	s_wait_alu 0xfffe
	s_add_nc_u64 s[28:29], s[2:3], s[28:29]
	s_mul_hi_u32 s21, s23, s26
	s_mul_hi_u32 s31, s23, s27
	s_add_co_u32 s2, s28, s30
	s_wait_alu 0xfffe
	s_add_co_ci_u32 s2, s29, s21
	s_mul_i32 s26, s23, s27
	s_add_co_ci_u32 s27, s31, 0
	s_wait_alu 0xfffe
	s_add_nc_u64 s[26:27], s[2:3], s[26:27]
	s_wait_alu 0xfffe
	v_add_co_u32 v4, s2, s22, s26
	s_delay_alu instid0(VALU_DEP_1) | instskip(SKIP_1) | instid1(VALU_DEP_1)
	s_cmp_lg_u32 s2, 0
	s_add_co_ci_u32 s23, s23, s27
	v_readfirstlane_b32 s22, v4
	s_wait_alu 0xfffe
	s_delay_alu instid0(VALU_DEP_1)
	s_mul_u64 s[24:25], s[24:25], s[22:23]
	s_wait_alu 0xfffe
	s_mul_hi_u32 s27, s22, s25
	s_mul_i32 s26, s22, s25
	s_mul_hi_u32 s2, s22, s24
	s_mul_i32 s28, s23, s24
	s_wait_alu 0xfffe
	s_add_nc_u64 s[26:27], s[2:3], s[26:27]
	s_mul_hi_u32 s21, s23, s24
	s_mul_hi_u32 s22, s23, s25
	s_wait_alu 0xfffe
	s_add_co_u32 s2, s26, s28
	s_add_co_ci_u32 s2, s27, s21
	s_mul_i32 s24, s23, s25
	s_add_co_ci_u32 s25, s22, 0
	s_wait_alu 0xfffe
	s_add_nc_u64 s[24:25], s[2:3], s[24:25]
	s_wait_alu 0xfffe
	v_add_co_u32 v4, s2, v4, s24
	s_delay_alu instid0(VALU_DEP_1) | instskip(SKIP_1) | instid1(VALU_DEP_1)
	s_cmp_lg_u32 s2, 0
	s_add_co_ci_u32 s2, s23, s25
	v_mul_hi_u32 v13, v5, v4
	s_wait_alu 0xfffe
	v_mad_co_u64_u32 v[7:8], null, v5, s2, 0
	v_mad_co_u64_u32 v[9:10], null, v6, v4, 0
	;; [unrolled: 1-line block ×3, first 2 shown]
	s_delay_alu instid0(VALU_DEP_3) | instskip(SKIP_1) | instid1(VALU_DEP_4)
	v_add_co_u32 v4, vcc_lo, v13, v7
	s_wait_alu 0xfffd
	v_add_co_ci_u32_e32 v7, vcc_lo, 0, v8, vcc_lo
	s_delay_alu instid0(VALU_DEP_2) | instskip(SKIP_1) | instid1(VALU_DEP_2)
	v_add_co_u32 v4, vcc_lo, v4, v9
	s_wait_alu 0xfffd
	v_add_co_ci_u32_e32 v4, vcc_lo, v7, v10, vcc_lo
	s_wait_alu 0xfffd
	v_add_co_ci_u32_e32 v7, vcc_lo, 0, v12, vcc_lo
	s_delay_alu instid0(VALU_DEP_2) | instskip(SKIP_1) | instid1(VALU_DEP_2)
	v_add_co_u32 v4, vcc_lo, v4, v11
	s_wait_alu 0xfffd
	v_add_co_ci_u32_e32 v9, vcc_lo, 0, v7, vcc_lo
	s_delay_alu instid0(VALU_DEP_2) | instskip(SKIP_1) | instid1(VALU_DEP_3)
	v_mul_lo_u32 v10, s19, v4
	v_mad_co_u64_u32 v[7:8], null, s18, v4, 0
	v_mul_lo_u32 v11, s18, v9
	s_delay_alu instid0(VALU_DEP_2) | instskip(NEXT) | instid1(VALU_DEP_2)
	v_sub_co_u32 v7, vcc_lo, v5, v7
	v_add3_u32 v8, v8, v11, v10
	s_delay_alu instid0(VALU_DEP_1) | instskip(SKIP_1) | instid1(VALU_DEP_1)
	v_sub_nc_u32_e32 v10, v6, v8
	s_wait_alu 0xfffd
	v_subrev_co_ci_u32_e64 v10, s2, s19, v10, vcc_lo
	v_add_co_u32 v11, s2, v4, 2
	s_wait_alu 0xf1ff
	v_add_co_ci_u32_e64 v12, s2, 0, v9, s2
	v_sub_co_u32 v13, s2, v7, s18
	v_sub_co_ci_u32_e32 v8, vcc_lo, v6, v8, vcc_lo
	s_wait_alu 0xf1ff
	v_subrev_co_ci_u32_e64 v10, s2, 0, v10, s2
	s_delay_alu instid0(VALU_DEP_3) | instskip(NEXT) | instid1(VALU_DEP_3)
	v_cmp_le_u32_e32 vcc_lo, s18, v13
	v_cmp_eq_u32_e64 s2, s19, v8
	s_wait_alu 0xfffd
	v_cndmask_b32_e64 v13, 0, -1, vcc_lo
	v_cmp_le_u32_e32 vcc_lo, s19, v10
	s_wait_alu 0xfffd
	v_cndmask_b32_e64 v14, 0, -1, vcc_lo
	v_cmp_le_u32_e32 vcc_lo, s18, v7
	;; [unrolled: 3-line block ×3, first 2 shown]
	s_wait_alu 0xfffd
	v_cndmask_b32_e64 v15, 0, -1, vcc_lo
	v_cmp_eq_u32_e32 vcc_lo, s19, v10
	s_wait_alu 0xf1ff
	s_delay_alu instid0(VALU_DEP_2)
	v_cndmask_b32_e64 v7, v15, v7, s2
	s_wait_alu 0xfffd
	v_cndmask_b32_e32 v10, v14, v13, vcc_lo
	v_add_co_u32 v13, vcc_lo, v4, 1
	s_wait_alu 0xfffd
	v_add_co_ci_u32_e32 v14, vcc_lo, 0, v9, vcc_lo
	s_delay_alu instid0(VALU_DEP_3) | instskip(SKIP_2) | instid1(VALU_DEP_3)
	v_cmp_ne_u32_e32 vcc_lo, 0, v10
	s_wait_alu 0xfffd
	v_cndmask_b32_e32 v10, v13, v11, vcc_lo
	v_cndmask_b32_e32 v8, v14, v12, vcc_lo
	v_cmp_ne_u32_e32 vcc_lo, 0, v7
	s_wait_alu 0xfffd
	s_delay_alu instid0(VALU_DEP_2)
	v_dual_cndmask_b32 v7, v4, v10 :: v_dual_cndmask_b32 v8, v9, v8
.LBB0_4:                                ;   in Loop: Header=BB0_2 Depth=1
	s_wait_alu 0xfffe
	s_and_not1_saveexec_b32 s2, s20
	s_cbranch_execz .LBB0_6
; %bb.5:                                ;   in Loop: Header=BB0_2 Depth=1
	v_cvt_f32_u32_e32 v4, s18
	s_sub_co_i32 s20, 0, s18
	s_delay_alu instid0(VALU_DEP_1) | instskip(NEXT) | instid1(TRANS32_DEP_1)
	v_rcp_iflag_f32_e32 v4, v4
	v_mul_f32_e32 v4, 0x4f7ffffe, v4
	s_delay_alu instid0(VALU_DEP_1) | instskip(SKIP_1) | instid1(VALU_DEP_1)
	v_cvt_u32_f32_e32 v4, v4
	s_wait_alu 0xfffe
	v_mul_lo_u32 v7, s20, v4
	s_delay_alu instid0(VALU_DEP_1) | instskip(NEXT) | instid1(VALU_DEP_1)
	v_mul_hi_u32 v7, v4, v7
	v_add_nc_u32_e32 v4, v4, v7
	s_delay_alu instid0(VALU_DEP_1) | instskip(NEXT) | instid1(VALU_DEP_1)
	v_mul_hi_u32 v4, v5, v4
	v_mul_lo_u32 v7, v4, s18
	v_add_nc_u32_e32 v8, 1, v4
	s_delay_alu instid0(VALU_DEP_2) | instskip(NEXT) | instid1(VALU_DEP_1)
	v_sub_nc_u32_e32 v7, v5, v7
	v_subrev_nc_u32_e32 v9, s18, v7
	v_cmp_le_u32_e32 vcc_lo, s18, v7
	s_wait_alu 0xfffd
	s_delay_alu instid0(VALU_DEP_2) | instskip(NEXT) | instid1(VALU_DEP_1)
	v_dual_cndmask_b32 v7, v7, v9 :: v_dual_cndmask_b32 v4, v4, v8
	v_cmp_le_u32_e32 vcc_lo, s18, v7
	s_delay_alu instid0(VALU_DEP_2) | instskip(SKIP_1) | instid1(VALU_DEP_1)
	v_add_nc_u32_e32 v8, 1, v4
	s_wait_alu 0xfffd
	v_dual_cndmask_b32 v7, v4, v8 :: v_dual_mov_b32 v8, v3
.LBB0_6:                                ;   in Loop: Header=BB0_2 Depth=1
	s_wait_alu 0xfffe
	s_or_b32 exec_lo, exec_lo, s2
	s_load_b64 s[20:21], s[12:13], 0x0
	s_delay_alu instid0(VALU_DEP_1)
	v_mul_lo_u32 v4, v8, s18
	v_mul_lo_u32 v11, v7, s19
	v_mad_co_u64_u32 v[9:10], null, v7, s18, 0
	s_add_nc_u64 s[14:15], s[14:15], 1
	s_add_nc_u64 s[12:13], s[12:13], 8
	s_wait_alu 0xfffe
	v_cmp_ge_u64_e64 s2, s[14:15], s[6:7]
	s_add_nc_u64 s[16:17], s[16:17], 8
	s_delay_alu instid0(VALU_DEP_2) | instskip(NEXT) | instid1(VALU_DEP_3)
	v_add3_u32 v4, v10, v11, v4
	v_sub_co_u32 v5, vcc_lo, v5, v9
	s_wait_alu 0xfffd
	s_delay_alu instid0(VALU_DEP_2) | instskip(SKIP_3) | instid1(VALU_DEP_2)
	v_sub_co_ci_u32_e32 v4, vcc_lo, v6, v4, vcc_lo
	s_and_b32 vcc_lo, exec_lo, s2
	s_wait_kmcnt 0x0
	v_mul_lo_u32 v6, s21, v5
	v_mul_lo_u32 v4, s20, v4
	v_mad_co_u64_u32 v[1:2], null, s20, v5, v[1:2]
	s_delay_alu instid0(VALU_DEP_1)
	v_add3_u32 v2, v6, v2, v4
	s_wait_alu 0xfffe
	s_cbranch_vccnz .LBB0_9
; %bb.7:                                ;   in Loop: Header=BB0_2 Depth=1
	v_dual_mov_b32 v5, v7 :: v_dual_mov_b32 v6, v8
	s_branch .LBB0_2
.LBB0_8:
	v_dual_mov_b32 v8, v6 :: v_dual_mov_b32 v7, v5
.LBB0_9:
	s_lshl_b64 s[2:3], s[6:7], 3
	v_mul_hi_u32 v5, 0x3333334, v0
	s_wait_alu 0xfffe
	s_add_nc_u64 s[2:3], s[10:11], s[2:3]
	s_load_b64 s[2:3], s[2:3], 0x0
	s_load_b64 s[0:1], s[0:1], 0x20
	s_wait_kmcnt 0x0
	v_mul_lo_u32 v3, s2, v8
	v_mul_lo_u32 v4, s3, v7
	v_mad_co_u64_u32 v[1:2], null, s2, v7, v[1:2]
	v_cmp_gt_u64_e32 vcc_lo, s[0:1], v[7:8]
	s_delay_alu instid0(VALU_DEP_2) | instskip(SKIP_1) | instid1(VALU_DEP_2)
	v_add3_u32 v2, v4, v2, v3
	v_mul_u32_u24_e32 v3, 0x50, v5
	v_lshlrev_b64_e32 v[110:111], 4, v[1:2]
	s_delay_alu instid0(VALU_DEP_2)
	v_sub_nc_u32_e32 v108, v0, v3
	s_and_saveexec_b32 s1, vcc_lo
	s_cbranch_execz .LBB0_13
; %bb.10:
	v_mov_b32_e32 v109, 0
	s_delay_alu instid0(VALU_DEP_3) | instskip(SKIP_2) | instid1(VALU_DEP_3)
	v_add_co_u32 v0, s0, s8, v110
	s_wait_alu 0xf1ff
	v_add_co_ci_u32_e64 v1, s0, s9, v111, s0
	v_lshlrev_b64_e32 v[2:3], 4, v[108:109]
	v_lshl_add_u32 v66, v108, 4, 0
	s_mov_b32 s2, exec_lo
	s_delay_alu instid0(VALU_DEP_2) | instskip(SKIP_1) | instid1(VALU_DEP_3)
	v_add_co_u32 v62, s0, v0, v2
	s_wait_alu 0xf1ff
	v_add_co_ci_u32_e64 v63, s0, v1, v3, s0
	s_clause 0xf
	global_load_b128 v[2:5], v[62:63], off
	global_load_b128 v[6:9], v[62:63], off offset:1280
	global_load_b128 v[10:13], v[62:63], off offset:2560
	;; [unrolled: 1-line block ×15, first 2 shown]
	s_wait_loadcnt 0xf
	ds_store_b128 v66, v[2:5]
	s_wait_loadcnt 0xe
	ds_store_b128 v66, v[6:9] offset:1280
	s_wait_loadcnt 0xd
	ds_store_b128 v66, v[10:13] offset:2560
	;; [unrolled: 2-line block ×15, first 2 shown]
	v_cmpx_eq_u32_e32 0x4f, v108
	s_cbranch_execz .LBB0_12
; %bb.11:
	global_load_b128 v[0:3], v[0:1], off offset:20480
	v_mov_b32_e32 v108, 0x4f
	s_wait_loadcnt 0x0
	ds_store_b128 v109, v[0:3] offset:20480
.LBB0_12:
	s_wait_alu 0xfffe
	s_or_b32 exec_lo, exec_lo, s2
.LBB0_13:
	s_wait_alu 0xfffe
	s_or_b32 exec_lo, exec_lo, s1
	v_lshlrev_b32_e32 v0, 4, v108
	global_wb scope:SCOPE_SE
	s_wait_dscnt 0x0
	s_barrier_signal -1
	s_barrier_wait -1
	global_inv scope:SCOPE_SE
	v_add_nc_u32_e32 v112, 0, v0
	v_sub_nc_u32_e32 v10, 0, v0
	s_mov_b32 s1, exec_lo
                                        ; implicit-def: $vgpr4_vgpr5
	ds_load_b64 v[6:7], v112
	ds_load_b64 v[8:9], v10 offset:20480
	s_wait_dscnt 0x0
	v_add_f64_e32 v[0:1], v[6:7], v[8:9]
	v_add_f64_e64 v[2:3], v[6:7], -v[8:9]
	v_cmpx_ne_u32_e32 0, v108
	s_wait_alu 0xfffe
	s_xor_b32 s1, exec_lo, s1
	s_cbranch_execz .LBB0_15
; %bb.14:
	v_mov_b32_e32 v109, 0
	v_add_f64_e32 v[13:14], v[6:7], v[8:9]
	v_add_f64_e64 v[15:16], v[6:7], -v[8:9]
	s_delay_alu instid0(VALU_DEP_3) | instskip(NEXT) | instid1(VALU_DEP_1)
	v_lshlrev_b64_e32 v[0:1], 4, v[108:109]
	v_add_co_u32 v0, s0, s4, v0
	s_wait_alu 0xf1ff
	s_delay_alu instid0(VALU_DEP_2)
	v_add_co_ci_u32_e64 v1, s0, s5, v1, s0
	global_load_b128 v[2:5], v[0:1], off offset:20224
	ds_load_b64 v[0:1], v10 offset:20488
	ds_load_b64 v[11:12], v112 offset:8
	s_wait_dscnt 0x0
	v_add_f64_e32 v[6:7], v[0:1], v[11:12]
	v_add_f64_e64 v[0:1], v[11:12], -v[0:1]
	s_wait_loadcnt 0x0
	v_fma_f64 v[8:9], v[15:16], v[4:5], v[13:14]
	v_fma_f64 v[11:12], -v[15:16], v[4:5], v[13:14]
	s_delay_alu instid0(VALU_DEP_3) | instskip(SKIP_1) | instid1(VALU_DEP_4)
	v_fma_f64 v[13:14], v[6:7], v[4:5], -v[0:1]
	v_fma_f64 v[4:5], v[6:7], v[4:5], v[0:1]
	v_fma_f64 v[0:1], -v[6:7], v[2:3], v[8:9]
	s_delay_alu instid0(VALU_DEP_4) | instskip(NEXT) | instid1(VALU_DEP_4)
	v_fma_f64 v[6:7], v[6:7], v[2:3], v[11:12]
	v_fma_f64 v[8:9], v[15:16], v[2:3], v[13:14]
	s_delay_alu instid0(VALU_DEP_4)
	v_fma_f64 v[2:3], v[15:16], v[2:3], v[4:5]
	v_dual_mov_b32 v4, v108 :: v_dual_mov_b32 v5, v109
	ds_store_b128 v10, v[6:9] offset:20480
.LBB0_15:
	s_wait_alu 0xfffe
	s_and_not1_saveexec_b32 s0, s1
	s_cbranch_execz .LBB0_17
; %bb.16:
	v_mov_b32_e32 v8, 0
	ds_load_b128 v[4:7], v8 offset:10240
	s_wait_dscnt 0x0
	v_add_f64_e32 v[11:12], v[4:5], v[4:5]
	v_mul_f64_e32 v[13:14], -2.0, v[6:7]
	v_mov_b32_e32 v4, 0
	v_mov_b32_e32 v5, 0
	ds_store_b128 v8, v[11:14] offset:10240
.LBB0_17:
	s_wait_alu 0xfffe
	s_or_b32 exec_lo, exec_lo, s0
	v_lshlrev_b64_e32 v[4:5], 4, v[4:5]
	s_add_nc_u64 s[0:1], s[4:5], 0x4f00
	s_mov_b32 s3, 0x3fe6a09e
	s_mov_b32 s6, 0xcf328d46
	;; [unrolled: 1-line block ×4, first 2 shown]
	s_wait_alu 0xfffe
	v_add_co_u32 v23, s0, s0, v4
	s_wait_alu 0xf1ff
	v_add_co_ci_u32_e64 v24, s0, s1, v5, s0
	s_mov_b32 s0, 0x667f3bcd
	s_mov_b32 s1, 0xbfe6a09e
	s_wait_alu 0xfffe
	s_mov_b32 s2, s0
	s_clause 0x1
	global_load_b128 v[4:7], v[23:24], off offset:1280
	global_load_b128 v[11:14], v[23:24], off offset:2560
	ds_store_b128 v112, v[0:3]
	ds_load_b128 v[0:3], v112 offset:1280
	ds_load_b128 v[15:18], v10 offset:19200
	global_load_b128 v[19:22], v[23:24], off offset:3840
	s_mov_b32 s14, s6
	s_mov_b32 s10, 0xa6aea964
	;; [unrolled: 1-line block ×5, first 2 shown]
	s_wait_dscnt 0x0
	v_add_f64_e32 v[8:9], v[0:1], v[15:16]
	v_add_f64_e32 v[25:26], v[17:18], v[2:3]
	v_add_f64_e64 v[15:16], v[0:1], -v[15:16]
	v_add_f64_e64 v[0:1], v[2:3], -v[17:18]
	s_wait_loadcnt 0x2
	s_delay_alu instid0(VALU_DEP_2) | instskip(NEXT) | instid1(VALU_DEP_2)
	v_fma_f64 v[2:3], v[15:16], v[6:7], v[8:9]
	v_fma_f64 v[17:18], v[25:26], v[6:7], v[0:1]
	v_fma_f64 v[8:9], -v[15:16], v[6:7], v[8:9]
	v_fma_f64 v[27:28], v[25:26], v[6:7], -v[0:1]
	s_delay_alu instid0(VALU_DEP_4) | instskip(NEXT) | instid1(VALU_DEP_4)
	v_fma_f64 v[0:1], -v[25:26], v[4:5], v[2:3]
	v_fma_f64 v[2:3], v[15:16], v[4:5], v[17:18]
	s_delay_alu instid0(VALU_DEP_4) | instskip(NEXT) | instid1(VALU_DEP_4)
	v_fma_f64 v[6:7], v[25:26], v[4:5], v[8:9]
	v_fma_f64 v[8:9], v[15:16], v[4:5], v[27:28]
	ds_store_b128 v112, v[0:3] offset:1280
	ds_store_b128 v10, v[6:9] offset:19200
	ds_load_b128 v[0:3], v112 offset:2560
	ds_load_b128 v[4:7], v10 offset:17920
	global_load_b128 v[15:18], v[23:24], off offset:5120
	s_wait_dscnt 0x0
	v_add_f64_e32 v[8:9], v[0:1], v[4:5]
	v_add_f64_e32 v[25:26], v[6:7], v[2:3]
	v_add_f64_e64 v[27:28], v[0:1], -v[4:5]
	v_add_f64_e64 v[0:1], v[2:3], -v[6:7]
	s_wait_loadcnt 0x2
	s_delay_alu instid0(VALU_DEP_2) | instskip(NEXT) | instid1(VALU_DEP_2)
	v_fma_f64 v[2:3], v[27:28], v[13:14], v[8:9]
	v_fma_f64 v[4:5], v[25:26], v[13:14], v[0:1]
	v_fma_f64 v[6:7], -v[27:28], v[13:14], v[8:9]
	v_fma_f64 v[8:9], v[25:26], v[13:14], -v[0:1]
	s_delay_alu instid0(VALU_DEP_4) | instskip(NEXT) | instid1(VALU_DEP_4)
	v_fma_f64 v[0:1], -v[25:26], v[11:12], v[2:3]
	v_fma_f64 v[2:3], v[27:28], v[11:12], v[4:5]
	s_delay_alu instid0(VALU_DEP_4) | instskip(NEXT) | instid1(VALU_DEP_4)
	v_fma_f64 v[4:5], v[25:26], v[11:12], v[6:7]
	v_fma_f64 v[6:7], v[27:28], v[11:12], v[8:9]
	ds_store_b128 v112, v[0:3] offset:2560
	ds_store_b128 v10, v[4:7] offset:17920
	ds_load_b128 v[0:3], v112 offset:3840
	ds_load_b128 v[4:7], v10 offset:16640
	global_load_b128 v[11:14], v[23:24], off offset:6400
	;; [unrolled: 22-line block ×4, first 2 shown]
	s_wait_dscnt 0x0
	v_add_f64_e32 v[8:9], v[0:1], v[4:5]
	v_add_f64_e32 v[23:24], v[6:7], v[2:3]
	v_add_f64_e64 v[25:26], v[0:1], -v[4:5]
	v_add_f64_e64 v[0:1], v[2:3], -v[6:7]
	s_wait_loadcnt 0x2
	s_delay_alu instid0(VALU_DEP_2) | instskip(NEXT) | instid1(VALU_DEP_2)
	v_fma_f64 v[2:3], v[25:26], v[13:14], v[8:9]
	v_fma_f64 v[4:5], v[23:24], v[13:14], v[0:1]
	v_fma_f64 v[6:7], -v[25:26], v[13:14], v[8:9]
	v_fma_f64 v[8:9], v[23:24], v[13:14], -v[0:1]
	s_delay_alu instid0(VALU_DEP_4) | instskip(NEXT) | instid1(VALU_DEP_4)
	v_fma_f64 v[0:1], -v[23:24], v[11:12], v[2:3]
	v_fma_f64 v[2:3], v[25:26], v[11:12], v[4:5]
	s_delay_alu instid0(VALU_DEP_4) | instskip(NEXT) | instid1(VALU_DEP_4)
	v_fma_f64 v[4:5], v[23:24], v[11:12], v[6:7]
	v_fma_f64 v[6:7], v[25:26], v[11:12], v[8:9]
	ds_store_b128 v112, v[0:3] offset:6400
	ds_store_b128 v10, v[4:7] offset:14080
	ds_load_b128 v[0:3], v112 offset:7680
	ds_load_b128 v[4:7], v10 offset:12800
	s_wait_dscnt 0x0
	v_add_f64_e32 v[8:9], v[0:1], v[4:5]
	v_add_f64_e32 v[11:12], v[6:7], v[2:3]
	v_add_f64_e64 v[13:14], v[0:1], -v[4:5]
	v_add_f64_e64 v[0:1], v[2:3], -v[6:7]
	s_wait_loadcnt 0x1
	s_delay_alu instid0(VALU_DEP_2) | instskip(NEXT) | instid1(VALU_DEP_2)
	v_fma_f64 v[2:3], v[13:14], v[21:22], v[8:9]
	v_fma_f64 v[4:5], v[11:12], v[21:22], v[0:1]
	v_fma_f64 v[6:7], -v[13:14], v[21:22], v[8:9]
	v_fma_f64 v[8:9], v[11:12], v[21:22], -v[0:1]
	s_delay_alu instid0(VALU_DEP_4) | instskip(NEXT) | instid1(VALU_DEP_4)
	v_fma_f64 v[0:1], -v[11:12], v[19:20], v[2:3]
	v_fma_f64 v[2:3], v[13:14], v[19:20], v[4:5]
	s_delay_alu instid0(VALU_DEP_4) | instskip(NEXT) | instid1(VALU_DEP_4)
	v_fma_f64 v[4:5], v[11:12], v[19:20], v[6:7]
	v_fma_f64 v[6:7], v[13:14], v[19:20], v[8:9]
	ds_store_b128 v112, v[0:3] offset:7680
	ds_store_b128 v10, v[4:7] offset:12800
	ds_load_b128 v[0:3], v112 offset:8960
	ds_load_b128 v[4:7], v10 offset:11520
	s_wait_dscnt 0x0
	v_add_f64_e32 v[8:9], v[0:1], v[4:5]
	v_add_f64_e32 v[11:12], v[6:7], v[2:3]
	v_add_f64_e64 v[13:14], v[0:1], -v[4:5]
	v_add_f64_e64 v[0:1], v[2:3], -v[6:7]
	s_wait_loadcnt 0x0
	s_delay_alu instid0(VALU_DEP_2) | instskip(NEXT) | instid1(VALU_DEP_2)
	v_fma_f64 v[2:3], v[13:14], v[17:18], v[8:9]
	v_fma_f64 v[4:5], v[11:12], v[17:18], v[0:1]
	v_fma_f64 v[6:7], -v[13:14], v[17:18], v[8:9]
	v_fma_f64 v[8:9], v[11:12], v[17:18], -v[0:1]
	s_delay_alu instid0(VALU_DEP_4) | instskip(NEXT) | instid1(VALU_DEP_4)
	v_fma_f64 v[0:1], -v[11:12], v[15:16], v[2:3]
	v_fma_f64 v[2:3], v[13:14], v[15:16], v[4:5]
	s_delay_alu instid0(VALU_DEP_4) | instskip(NEXT) | instid1(VALU_DEP_4)
	v_fma_f64 v[4:5], v[11:12], v[15:16], v[6:7]
	v_fma_f64 v[6:7], v[13:14], v[15:16], v[8:9]
	ds_store_b128 v112, v[0:3] offset:8960
	ds_store_b128 v10, v[4:7] offset:11520
	global_wb scope:SCOPE_SE
	s_wait_dscnt 0x0
	s_barrier_signal -1
	s_barrier_wait -1
	global_inv scope:SCOPE_SE
	global_wb scope:SCOPE_SE
	s_barrier_signal -1
	s_barrier_wait -1
	global_inv scope:SCOPE_SE
	ds_load_b128 v[0:3], v112 offset:10240
	ds_load_b128 v[4:7], v112
	ds_load_b128 v[8:11], v112 offset:5120
	ds_load_b128 v[12:15], v112 offset:15360
	;; [unrolled: 1-line block ×14, first 2 shown]
	global_wb scope:SCOPE_SE
	s_wait_dscnt 0x0
	s_barrier_signal -1
	s_barrier_wait -1
	global_inv scope:SCOPE_SE
	v_add_f64_e64 v[0:1], v[4:5], -v[0:1]
	v_add_f64_e64 v[2:3], v[6:7], -v[2:3]
	;; [unrolled: 1-line block ×16, first 2 shown]
	v_fma_f64 v[4:5], v[4:5], 2.0, -v[0:1]
	v_fma_f64 v[6:7], v[6:7], 2.0, -v[2:3]
	v_add_f64_e64 v[66:67], v[2:3], -v[12:13]
	v_add_f64_e32 v[64:65], v[0:1], v[14:15]
	v_fma_f64 v[8:9], v[8:9], 2.0, -v[12:13]
	v_fma_f64 v[10:11], v[10:11], 2.0, -v[14:15]
	v_add_f64_e64 v[70:71], v[22:23], -v[28:29]
	v_add_f64_e32 v[68:69], v[20:21], v[30:31]
	;; [unrolled: 4-line block ×3, first 2 shown]
	v_fma_f64 v[16:17], v[24:25], 2.0, -v[28:29]
	v_fma_f64 v[18:19], v[26:27], 2.0, -v[30:31]
	v_add_f64_e32 v[76:77], v[52:53], v[62:63]
	v_add_f64_e64 v[78:79], v[54:55], -v[60:61]
	v_fma_f64 v[24:25], v[32:33], 2.0, -v[36:37]
	v_fma_f64 v[26:27], v[34:35], 2.0, -v[38:39]
	;; [unrolled: 1-line block ×10, first 2 shown]
	v_add_f64_e64 v[8:9], v[4:5], -v[8:9]
	v_add_f64_e64 v[10:11], v[6:7], -v[10:11]
	v_fma_f64 v[22:23], v[22:23], 2.0, -v[70:71]
	v_fma_f64 v[20:21], v[20:21], 2.0, -v[68:69]
	s_wait_alu 0xfffe
	v_fma_f64 v[48:49], v[68:69], s[2:3], v[64:65]
	v_fma_f64 v[50:51], v[70:71], s[2:3], v[66:67]
	v_fma_f64 v[38:39], v[38:39], 2.0, -v[74:75]
	v_fma_f64 v[36:37], v[36:37], 2.0, -v[72:73]
	v_add_f64_e64 v[16:17], v[12:13], -v[16:17]
	v_add_f64_e64 v[18:19], v[14:15], -v[18:19]
	v_fma_f64 v[44:45], v[52:53], 2.0, -v[76:77]
	v_fma_f64 v[46:47], v[54:55], 2.0, -v[78:79]
	v_fma_f64 v[52:53], v[76:77], s[2:3], v[72:73]
	v_fma_f64 v[54:55], v[78:79], s[2:3], v[74:75]
	v_add_f64_e64 v[28:29], v[24:25], -v[28:29]
	v_add_f64_e64 v[30:31], v[26:27], -v[30:31]
	;; [unrolled: 1-line block ×4, first 2 shown]
	v_fma_f64 v[4:5], v[4:5], 2.0, -v[8:9]
	v_fma_f64 v[6:7], v[6:7], 2.0, -v[10:11]
	v_fma_f64 v[58:59], v[22:23], s[0:1], v[2:3]
	v_fma_f64 v[56:57], v[20:21], s[0:1], v[0:1]
	;; [unrolled: 1-line block ×4, first 2 shown]
	v_fma_f64 v[12:13], v[12:13], 2.0, -v[16:17]
	v_fma_f64 v[14:15], v[14:15], 2.0, -v[18:19]
	v_fma_f64 v[60:61], v[44:45], s[0:1], v[36:37]
	v_fma_f64 v[62:63], v[46:47], s[0:1], v[38:39]
	v_add_f64_e32 v[80:81], v[8:9], v[18:19]
	v_add_f64_e64 v[82:83], v[10:11], -v[16:17]
	v_fma_f64 v[52:53], v[78:79], s[2:3], v[52:53]
	v_fma_f64 v[54:55], v[76:77], s[0:1], v[54:55]
	v_fma_f64 v[24:25], v[24:25], 2.0, -v[28:29]
	v_fma_f64 v[26:27], v[26:27], 2.0, -v[30:31]
	v_add_f64_e32 v[16:17], v[28:29], v[40:41]
	v_add_f64_e64 v[18:19], v[30:31], -v[42:43]
	v_fma_f64 v[32:33], v[32:33], 2.0, -v[42:43]
	v_fma_f64 v[34:35], v[34:35], 2.0, -v[40:41]
	v_fma_f64 v[58:59], v[20:21], s[0:1], v[58:59]
	v_fma_f64 v[56:57], v[22:23], s[2:3], v[56:57]
	v_add_f64_e64 v[42:43], v[4:5], -v[12:13]
	v_fma_f64 v[40:41], v[46:47], s[2:3], v[60:61]
	v_fma_f64 v[21:22], v[44:45], s[0:1], v[62:63]
	v_add_f64_e64 v[44:45], v[6:7], -v[14:15]
	v_fma_f64 v[46:47], v[8:9], 2.0, -v[80:81]
	v_fma_f64 v[60:61], v[10:11], 2.0, -v[82:83]
	;; [unrolled: 1-line block ×8, first 2 shown]
	v_add_f64_e64 v[11:12], v[24:25], -v[32:33]
	v_add_f64_e64 v[9:10], v[26:27], -v[34:35]
	v_fma_f64 v[70:71], v[2:3], 2.0, -v[58:59]
	v_fma_f64 v[68:69], v[0:1], 2.0, -v[56:57]
	v_fma_f64 v[0:1], v[16:17], s[2:3], v[80:81]
	v_fma_f64 v[2:3], v[18:19], s[2:3], v[82:83]
	v_fma_f64 v[72:73], v[4:5], 2.0, -v[42:43]
	v_mad_u32_u24 v4, 0xf0, v108, v112
	v_fma_f64 v[32:33], v[36:37], 2.0, -v[40:41]
	v_fma_f64 v[34:35], v[38:39], 2.0, -v[21:22]
	v_fma_f64 v[36:37], v[52:53], s[14:15], v[48:49]
	v_fma_f64 v[38:39], v[54:55], s[14:15], v[50:51]
	;; [unrolled: 1-line block ×4, first 2 shown]
	v_fma_f64 v[74:75], v[6:7], 2.0, -v[44:45]
	v_fma_f64 v[86:87], v[66:67], s[12:13], v[64:65]
	v_fma_f64 v[76:77], v[28:29], s[0:1], v[46:47]
	;; [unrolled: 1-line block ×4, first 2 shown]
	v_fma_f64 v[92:93], v[24:25], 2.0, -v[11:12]
	v_fma_f64 v[94:95], v[26:27], 2.0, -v[9:10]
	v_add_f64_e32 v[9:10], v[42:43], v[9:10]
	v_add_f64_e64 v[11:12], v[44:45], -v[11:12]
	v_fma_f64 v[5:6], v[18:19], s[2:3], v[0:1]
	v_fma_f64 v[7:8], v[16:17], s[0:1], v[2:3]
	;; [unrolled: 1-line block ×12, first 2 shown]
	v_add_f64_e64 v[25:26], v[72:73], -v[92:93]
	v_add_f64_e64 v[27:28], v[74:75], -v[94:95]
	v_fma_f64 v[41:42], v[42:43], 2.0, -v[9:10]
	v_fma_f64 v[43:44], v[44:45], 2.0, -v[11:12]
	v_cmp_gt_u32_e64 s0, 16, v108
	v_fma_f64 v[29:30], v[34:35], s[10:11], v[96:97]
	v_fma_f64 v[31:32], v[32:33], s[12:13], v[98:99]
	v_fma_f64 v[33:34], v[80:81], 2.0, -v[5:6]
	v_fma_f64 v[35:36], v[82:83], 2.0, -v[7:8]
	;; [unrolled: 1-line block ×14, first 2 shown]
	ds_store_b128 v4, v[5:8] offset:224
	ds_store_b128 v4, v[0:3] offset:240
	ds_store_b128 v4, v[33:36] offset:96
	ds_store_b128 v4, v[37:40] offset:112
	ds_store_b128 v4, v[13:16] offset:160
	ds_store_b128 v4, v[17:20] offset:176
	ds_store_b128 v4, v[9:12] offset:192
	ds_store_b128 v4, v[21:24] offset:208
	ds_store_b128 v4, v[45:48] offset:32
	ds_store_b128 v4, v[49:52] offset:48
	ds_store_b128 v4, v[41:44] offset:64
	ds_store_b128 v4, v[53:56] offset:80
	ds_store_b128 v4, v[25:28] offset:128
	ds_store_b128 v4, v[29:32] offset:144
	ds_store_b128 v4, v[57:60]
	ds_store_b128 v4, v[61:64] offset:16
	global_wb scope:SCOPE_SE
	s_wait_dscnt 0x0
	s_barrier_signal -1
	s_barrier_wait -1
	global_inv scope:SCOPE_SE
	ds_load_b128 v[56:59], v112
	ds_load_b128 v[52:55], v112 offset:1280
	ds_load_b128 v[84:87], v112 offset:8192
	;; [unrolled: 1-line block ×14, first 2 shown]
                                        ; implicit-def: $vgpr18_vgpr19
                                        ; implicit-def: $vgpr14_vgpr15
                                        ; implicit-def: $vgpr10_vgpr11
                                        ; implicit-def: $vgpr6_vgpr7
	s_and_saveexec_b32 s1, s0
	s_cbranch_execz .LBB0_19
; %bb.18:
	v_mad_i32_i24 v16, 0xffffff10, v108, v4
	ds_load_b128 v[0:3], v112 offset:3840
	ds_load_b128 v[4:7], v16 offset:7936
	;; [unrolled: 1-line block ×5, first 2 shown]
.LBB0_19:
	s_wait_alu 0xfffe
	s_or_b32 exec_lo, exec_lo, s1
	v_lshlrev_b32_e32 v20, 6, v108
	v_and_b32_e32 v113, 15, v108
	s_mov_b32 s2, 0x134454ff
	s_mov_b32 s3, 0xbfee6f0e
	;; [unrolled: 1-line block ×3, first 2 shown]
	v_and_b32_e32 v109, 0x3c0, v20
	v_lshlrev_b32_e32 v36, 6, v113
	s_wait_alu 0xfffe
	s_mov_b32 s6, s2
	s_mov_b32 s12, 0x4755a5e
	;; [unrolled: 1-line block ×3, first 2 shown]
	s_clause 0x7
	global_load_b128 v[20:23], v109, s[4:5]
	global_load_b128 v[24:27], v109, s[4:5] offset:16
	global_load_b128 v[28:31], v109, s[4:5] offset:32
	;; [unrolled: 1-line block ×3, first 2 shown]
	global_load_b64 v[114:115], v36, s[4:5]
	global_load_b128 v[36:39], v109, s[4:5] offset:8
	global_load_b128 v[40:43], v109, s[4:5] offset:24
	;; [unrolled: 1-line block ×3, first 2 shown]
	s_mov_b32 s11, 0x3fe2cf23
	s_wait_alu 0xfffe
	s_mov_b32 s10, s12
	s_mov_b32 s14, 0x372fe950
	;; [unrolled: 1-line block ×3, first 2 shown]
	global_wb scope:SCOPE_SE
	s_wait_loadcnt_dscnt 0x0
	s_barrier_signal -1
	s_barrier_wait -1
	global_inv scope:SCOPE_SE
	v_mul_f64_e32 v[116:117], v[106:107], v[22:23]
	v_mul_f64_e32 v[118:119], v[104:105], v[22:23]
	;; [unrolled: 1-line block ×24, first 2 shown]
	v_fma_f64 v[104:105], v[104:105], v[114:115], v[116:117]
	v_fma_f64 v[106:107], v[106:107], v[114:115], -v[118:119]
	v_fma_f64 v[100:101], v[100:101], v[114:115], v[120:121]
	v_fma_f64 v[102:103], v[102:103], v[114:115], -v[122:123]
	;; [unrolled: 2-line block ×12, first 2 shown]
	v_add_f64_e32 v[142:143], v[56:57], v[104:105]
	v_add_f64_e32 v[140:141], v[58:59], v[106:107]
	v_add_f64_e32 v[144:145], v[52:53], v[100:101]
	v_add_f64_e32 v[146:147], v[54:55], v[102:103]
	v_add_f64_e64 v[124:125], v[104:105], -v[84:85]
	v_add_f64_e64 v[128:129], v[106:107], -v[86:87]
	v_add_f64_e32 v[46:47], v[84:85], v[92:93]
	v_add_f64_e32 v[60:61], v[86:87], v[94:95]
	v_add_f64_e32 v[62:63], v[104:105], v[72:73]
	v_add_f64_e32 v[78:79], v[106:107], v[74:75]
	v_add_f64_e64 v[126:127], v[72:73], -v[92:93]
	v_add_f64_e64 v[130:131], v[74:75], -v[94:95]
	;; [unrolled: 6-line block ×4, first 2 shown]
	v_add_f64_e64 v[106:107], v[106:107], -v[74:75]
	v_add_f64_e64 v[104:105], v[104:105], -v[72:73]
	;; [unrolled: 1-line block ×3, first 2 shown]
	v_add_f64_e32 v[142:143], v[142:143], v[84:85]
	v_add_f64_e32 v[140:141], v[140:141], v[86:87]
	;; [unrolled: 1-line block ×3, first 2 shown]
	v_add_f64_e64 v[86:87], v[86:87], -v[94:95]
	v_add_f64_e32 v[146:147], v[146:147], v[70:71]
	v_add_f64_e64 v[84:85], v[84:85], -v[92:93]
	v_fma_f64 v[46:47], v[46:47], -0.5, v[56:57]
	v_fma_f64 v[60:61], v[60:61], -0.5, v[58:59]
	;; [unrolled: 1-line block ×4, first 2 shown]
	v_add_f64_e32 v[62:63], v[48:49], v[96:97]
	v_add_f64_e32 v[78:79], v[50:51], v[22:23]
	v_fma_f64 v[80:81], v[80:81], -0.5, v[52:53]
	v_fma_f64 v[82:83], v[82:83], -0.5, v[54:55]
	;; [unrolled: 1-line block ×4, first 2 shown]
	v_add_f64_e64 v[98:99], v[100:101], -v[68:69]
	v_add_f64_e64 v[114:115], v[68:69], -v[100:101]
	v_fma_f64 v[116:117], v[116:117], -0.5, v[48:49]
	v_fma_f64 v[118:119], v[118:119], -0.5, v[50:51]
	v_fma_f64 v[48:49], v[120:121], -0.5, v[48:49]
	v_fma_f64 v[50:51], v[122:123], -0.5, v[50:51]
	v_add_f64_e64 v[120:121], v[64:65], -v[88:89]
	v_add_f64_e64 v[122:123], v[88:89], -v[64:65]
	v_add_f64_e32 v[124:125], v[124:125], v[126:127]
	v_add_f64_e64 v[126:127], v[102:103], -v[70:71]
	v_add_f64_e32 v[128:129], v[128:129], v[130:131]
	;; [unrolled: 2-line block ×4, first 2 shown]
	v_add_f64_e64 v[138:139], v[90:91], -v[66:67]
	v_add_f64_e64 v[102:103], v[102:103], -v[66:67]
	;; [unrolled: 1-line block ×5, first 2 shown]
	v_add_f64_e32 v[92:93], v[142:143], v[92:93]
	v_add_f64_e32 v[94:95], v[140:141], v[94:95]
	;; [unrolled: 1-line block ×4, first 2 shown]
	v_fma_f64 v[140:141], v[106:107], s[2:3], v[46:47]
	v_fma_f64 v[46:47], v[106:107], s[6:7], v[46:47]
	;; [unrolled: 1-line block ×4, first 2 shown]
	v_add_f64_e32 v[62:63], v[62:63], v[76:77]
	v_add_f64_e32 v[78:79], v[78:79], v[26:27]
	v_fma_f64 v[144:145], v[86:87], s[6:7], v[56:57]
	v_fma_f64 v[56:57], v[86:87], s[2:3], v[56:57]
	;; [unrolled: 1-line block ×4, first 2 shown]
	v_add_f64_e32 v[98:99], v[98:99], v[120:121]
	v_add_f64_e64 v[120:121], v[22:23], -v[26:27]
	v_add_f64_e32 v[114:115], v[114:115], v[122:123]
	v_add_f64_e64 v[122:123], v[42:43], -v[38:39]
	;; [unrolled: 2-line block ×4, first 2 shown]
	v_fma_f64 v[140:141], v[86:87], s[12:13], v[140:141]
	s_wait_alu 0xfffe
	v_fma_f64 v[86:87], v[86:87], s[10:11], v[46:47]
	v_fma_f64 v[46:47], v[70:71], s[6:7], v[52:53]
	;; [unrolled: 1-line block ×11, first 2 shown]
	v_add_f64_e32 v[122:123], v[130:131], v[122:123]
	v_add_f64_e64 v[130:131], v[76:77], -v[96:97]
	v_add_f64_e64 v[96:97], v[96:97], -v[42:43]
	;; [unrolled: 1-line block ×3, first 2 shown]
	v_add_f64_e32 v[120:121], v[120:121], v[138:139]
	v_add_f64_e64 v[138:139], v[38:39], -v[42:43]
	v_add_f64_e32 v[38:39], v[62:63], v[38:39]
	v_fma_f64 v[62:63], v[100:101], s[6:7], v[82:83]
	v_fma_f64 v[82:83], v[100:101], s[2:3], v[82:83]
	;; [unrolled: 1-line block ×5, first 2 shown]
	v_add_f64_e32 v[130:131], v[130:131], v[138:139]
	v_add_f64_e64 v[138:139], v[26:27], -v[22:23]
	v_add_f64_e64 v[22:23], v[22:23], -v[34:35]
	;; [unrolled: 1-line block ×3, first 2 shown]
	v_add_f64_e32 v[30:31], v[78:79], v[30:31]
	v_fma_f64 v[78:79], v[102:103], s[2:3], v[80:81]
	v_fma_f64 v[80:81], v[102:103], s[6:7], v[80:81]
	;; [unrolled: 1-line block ×3, first 2 shown]
	v_add_f64_e32 v[54:55], v[38:39], v[42:43]
	v_add_f64_e32 v[138:139], v[138:139], v[148:149]
	v_fma_f64 v[56:57], v[22:23], s[2:3], v[116:117]
	v_fma_f64 v[116:117], v[22:23], s[6:7], v[116:117]
	v_fma_f64 v[58:59], v[26:27], s[6:7], v[48:49]
	v_fma_f64 v[78:79], v[70:71], s[12:13], v[78:79]
	v_fma_f64 v[80:81], v[70:71], s[10:11], v[80:81]
	v_fma_f64 v[70:71], v[96:97], s[6:7], v[118:119]
	v_fma_f64 v[148:149], v[68:69], s[10:11], v[62:63]
	v_fma_f64 v[62:63], v[76:77], s[2:3], v[50:51]
	v_fma_f64 v[48:49], v[26:27], s[2:3], v[48:49]
	v_fma_f64 v[50:51], v[76:77], s[6:7], v[50:51]
	v_fma_f64 v[68:69], v[96:97], s[2:3], v[118:119]
	v_fma_f64 v[118:119], v[102:103], s[12:13], v[46:47]
	v_fma_f64 v[102:103], v[102:103], s[10:11], v[52:53]
	v_add_f64_e32 v[46:47], v[92:93], v[72:73]
	v_add_f64_e32 v[52:53], v[90:91], v[66:67]
	v_fma_f64 v[66:67], v[132:133], s[14:15], v[144:145]
	v_fma_f64 v[72:73], v[136:137], s[14:15], v[104:105]
	;; [unrolled: 1-line block ×6, first 2 shown]
	v_add_f64_e32 v[56:57], v[30:31], v[34:35]
	v_fma_f64 v[154:155], v[76:77], s[10:11], v[70:71]
	v_fma_f64 v[70:71], v[132:133], s[14:15], v[106:107]
	;; [unrolled: 1-line block ×6, first 2 shown]
	v_add_f64_e32 v[48:49], v[94:95], v[74:75]
	v_fma_f64 v[68:69], v[136:137], s[14:15], v[146:147]
	v_add_f64_e32 v[50:51], v[88:89], v[64:65]
	v_fma_f64 v[62:63], v[124:125], s[14:15], v[86:87]
	v_fma_f64 v[64:65], v[128:129], s[14:15], v[84:85]
	;; [unrolled: 1-line block ×13, first 2 shown]
	v_lshrrev_b32_e32 v26, 4, v108
	v_fma_f64 v[92:93], v[120:121], s[14:15], v[154:155]
	v_fma_f64 v[100:101], v[138:139], s[14:15], v[156:157]
	;; [unrolled: 1-line block ×5, first 2 shown]
	v_add_nc_u32_e32 v22, 0x50, v108
	v_add_nc_u32_e32 v23, 0xa0, v108
	v_mul_u32_u24_e32 v26, 0x50, v26
	s_delay_alu instid0(VALU_DEP_3) | instskip(NEXT) | instid1(VALU_DEP_3)
	v_lshrrev_b32_e32 v22, 4, v22
	v_lshrrev_b32_e32 v23, 4, v23
	s_delay_alu instid0(VALU_DEP_3) | instskip(NEXT) | instid1(VALU_DEP_3)
	v_or_b32_e32 v26, v26, v113
	v_mul_u32_u24_e32 v22, 0x50, v22
	s_delay_alu instid0(VALU_DEP_3) | instskip(NEXT) | instid1(VALU_DEP_3)
	v_mul_u32_u24_e32 v23, 0x50, v23
	v_lshl_add_u32 v26, v26, 4, 0
	s_delay_alu instid0(VALU_DEP_3) | instskip(NEXT) | instid1(VALU_DEP_3)
	v_or_b32_e32 v22, v22, v113
	v_or_b32_e32 v23, v23, v113
	s_delay_alu instid0(VALU_DEP_2) | instskip(NEXT) | instid1(VALU_DEP_2)
	v_lshl_add_u32 v22, v22, 4, 0
	v_lshl_add_u32 v23, v23, 4, 0
	ds_store_b128 v26, v[46:49]
	ds_store_b128 v26, v[58:61] offset:256
	ds_store_b128 v26, v[66:69] offset:512
	ds_store_b128 v26, v[70:73] offset:768
	ds_store_b128 v26, v[62:65] offset:1024
	ds_store_b128 v22, v[50:53]
	ds_store_b128 v22, v[74:77] offset:256
	ds_store_b128 v22, v[82:85] offset:512
	ds_store_b128 v22, v[86:89] offset:768
	ds_store_b128 v22, v[78:81] offset:1024
	;; [unrolled: 5-line block ×3, first 2 shown]
	s_and_saveexec_b32 s1, s0
	s_cbranch_execz .LBB0_21
; %bb.20:
	v_add_co_u32 v22, s0, s4, v109
	s_wait_alu 0xf1ff
	v_add_co_ci_u32_e64 v23, null, s5, 0, s0
	v_mul_f64_e32 v[26:27], v[8:9], v[40:41]
	s_delay_alu instid0(VALU_DEP_3) | instskip(SKIP_1) | instid1(VALU_DEP_3)
	v_add_co_u32 v22, s0, v22, 48
	s_wait_alu 0xf1ff
	v_add_co_ci_u32_e64 v23, s0, 0, v23, s0
	v_mul_f64_e32 v[30:31], v[12:13], v[44:45]
	v_mul_f64_e32 v[34:35], v[10:11], v[40:41]
	;; [unrolled: 1-line block ×3, first 2 shown]
	global_load_b64 v[22:23], v[22:23], off offset:8
	v_mul_f64_e32 v[40:41], v[4:5], v[36:37]
	v_mul_f64_e32 v[36:37], v[6:7], v[36:37]
	v_fma_f64 v[10:11], v[10:11], v[24:25], -v[26:27]
	v_fma_f64 v[14:15], v[14:15], v[28:29], -v[30:31]
	v_fma_f64 v[8:9], v[8:9], v[24:25], v[34:35]
	v_fma_f64 v[12:13], v[12:13], v[28:29], v[38:39]
	v_fma_f64 v[6:7], v[6:7], v[20:21], -v[40:41]
	v_fma_f64 v[4:5], v[4:5], v[20:21], v[36:37]
	v_add_f64_e32 v[20:21], v[10:11], v[14:15]
	s_delay_alu instid0(VALU_DEP_3) | instskip(NEXT) | instid1(VALU_DEP_3)
	v_add_f64_e32 v[28:29], v[2:3], v[6:7]
	v_add_f64_e32 v[30:31], v[0:1], v[4:5]
	v_add_f64_e64 v[38:39], v[8:9], -v[4:5]
	s_delay_alu instid0(VALU_DEP_4) | instskip(SKIP_3) | instid1(VALU_DEP_2)
	v_fma_f64 v[20:21], v[20:21], -0.5, v[2:3]
	s_wait_loadcnt 0x0
	v_mul_f64_e32 v[42:43], v[16:17], v[22:23]
	v_mul_f64_e32 v[22:23], v[18:19], v[22:23]
	v_fma_f64 v[18:19], v[18:19], v[32:33], -v[42:43]
	s_delay_alu instid0(VALU_DEP_2) | instskip(SKIP_2) | instid1(VALU_DEP_4)
	v_fma_f64 v[16:17], v[16:17], v[32:33], v[22:23]
	v_add_f64_e32 v[22:23], v[8:9], v[12:13]
	v_add_f64_e64 v[32:33], v[8:9], -v[12:13]
	v_add_f64_e32 v[24:25], v[6:7], v[18:19]
	s_delay_alu instid0(VALU_DEP_4)
	v_add_f64_e32 v[26:27], v[4:5], v[16:17]
	v_add_f64_e64 v[34:35], v[4:5], -v[16:17]
	v_fma_f64 v[22:23], v[22:23], -0.5, v[0:1]
	v_add_f64_e64 v[36:37], v[6:7], -v[18:19]
	v_add_f64_e64 v[4:5], v[4:5], -v[8:9]
	v_add_f64_e32 v[8:9], v[30:31], v[8:9]
	v_add_f64_e64 v[30:31], v[18:19], -v[14:15]
	v_add_f64_e64 v[42:43], v[16:17], -v[12:13]
	;; [unrolled: 1-line block ×3, first 2 shown]
	v_fma_f64 v[2:3], v[24:25], -0.5, v[2:3]
	v_add_f64_e64 v[24:25], v[10:11], -v[14:15]
	v_fma_f64 v[0:1], v[26:27], -0.5, v[0:1]
	v_add_f64_e64 v[26:27], v[10:11], -v[6:7]
	v_add_f64_e64 v[6:7], v[6:7], -v[10:11]
	v_add_f64_e32 v[10:11], v[28:29], v[10:11]
	v_add_f64_e64 v[28:29], v[14:15], -v[18:19]
	v_fma_f64 v[44:45], v[34:35], s[2:3], v[20:21]
	v_fma_f64 v[20:21], v[34:35], s[6:7], v[20:21]
	;; [unrolled: 1-line block ×4, first 2 shown]
	v_add_f64_e32 v[8:9], v[8:9], v[12:13]
	v_add_f64_e32 v[4:5], v[4:5], v[42:43]
	v_fma_f64 v[48:49], v[32:33], s[6:7], v[2:3]
	v_fma_f64 v[2:3], v[32:33], s[2:3], v[2:3]
	;; [unrolled: 1-line block ×4, first 2 shown]
	v_add_f64_e32 v[10:11], v[10:11], v[14:15]
	v_add_f64_e32 v[12:13], v[26:27], v[28:29]
	;; [unrolled: 1-line block ×3, first 2 shown]
	v_fma_f64 v[20:21], v[32:33], s[10:11], v[20:21]
	v_fma_f64 v[28:29], v[24:25], s[12:13], v[46:47]
	v_add_f64_e32 v[26:27], v[38:39], v[40:41]
	v_fma_f64 v[6:7], v[32:33], s[12:13], v[44:45]
	v_fma_f64 v[22:23], v[24:25], s[10:11], v[22:23]
	;; [unrolled: 1-line block ×6, first 2 shown]
	v_add_f64_e32 v[0:1], v[8:9], v[16:17]
	v_add_f64_e32 v[2:3], v[10:11], v[18:19]
	v_fma_f64 v[10:11], v[14:15], s[14:15], v[20:21]
	v_fma_f64 v[8:9], v[4:5], s[14:15], v[28:29]
	;; [unrolled: 1-line block ×8, first 2 shown]
	ds_store_b128 v112, v[0:3] offset:19200
	ds_store_b128 v112, v[8:11] offset:19456
	;; [unrolled: 1-line block ×5, first 2 shown]
.LBB0_21:
	s_wait_alu 0xfffe
	s_or_b32 exec_lo, exec_lo, s1
	v_mul_u32_u24_e32 v0, 15, v108
	global_wb scope:SCOPE_SE
	s_wait_dscnt 0x0
	s_barrier_signal -1
	s_barrier_wait -1
	global_inv scope:SCOPE_SE
	v_lshlrev_b32_e32 v56, 4, v0
	s_mov_b32 s0, 0x667f3bcd
	s_mov_b32 s1, 0xbfe6a09e
	;; [unrolled: 1-line block ×3, first 2 shown]
	s_wait_alu 0xfffe
	s_mov_b32 s2, s0
	s_clause 0xe
	global_load_b128 v[0:3], v56, s[4:5] offset:1024
	global_load_b128 v[4:7], v56, s[4:5] offset:1040
	;; [unrolled: 1-line block ×15, first 2 shown]
	ds_load_b128 v[60:63], v112 offset:1280
	ds_load_b128 v[64:67], v112 offset:2560
	;; [unrolled: 1-line block ×3, first 2 shown]
	ds_load_b128 v[72:75], v112
	ds_load_b128 v[76:79], v112 offset:5120
	ds_load_b128 v[80:83], v112 offset:6400
	;; [unrolled: 1-line block ×12, first 2 shown]
	s_mov_b32 s4, 0xcf328d46
	s_mov_b32 s5, 0xbfed906b
	;; [unrolled: 1-line block ×3, first 2 shown]
	s_wait_alu 0xfffe
	s_mov_b32 s12, s4
	s_mov_b32 s6, 0xa6aea964
	;; [unrolled: 1-line block ×4, first 2 shown]
	s_wait_alu 0xfffe
	s_mov_b32 s10, s6
	global_wb scope:SCOPE_SE
	s_wait_loadcnt_dscnt 0x0
	s_barrier_signal -1
	s_barrier_wait -1
	global_inv scope:SCOPE_SE
	v_mul_f64_e32 v[129:130], v[62:63], v[2:3]
	v_mul_f64_e32 v[2:3], v[60:61], v[2:3]
	;; [unrolled: 1-line block ×18, first 2 shown]
	v_fma_f64 v[60:61], v[60:61], v[0:1], v[129:130]
	v_fma_f64 v[0:1], v[62:63], v[0:1], -v[2:3]
	v_mul_f64_e32 v[2:3], v[102:103], v[38:39]
	v_mul_f64_e32 v[38:39], v[100:101], v[38:39]
	v_mul_f64_e32 v[62:63], v[115:116], v[42:43]
	v_mul_f64_e32 v[42:43], v[113:114], v[42:43]
	v_fma_f64 v[64:65], v[64:65], v[4:5], v[131:132]
	v_fma_f64 v[4:5], v[66:67], v[4:5], -v[6:7]
	v_mul_f64_e32 v[6:7], v[123:124], v[46:47]
	v_mul_f64_e32 v[46:47], v[121:122], v[46:47]
	v_mul_f64_e32 v[66:67], v[119:120], v[50:51]
	v_mul_f64_e32 v[50:51], v[117:118], v[50:51]
	;; [unrolled: 6-line block ×3, first 2 shown]
	v_fma_f64 v[76:77], v[76:77], v[12:13], v[135:136]
	v_fma_f64 v[12:13], v[78:79], v[12:13], -v[14:15]
	v_fma_f64 v[14:15], v[80:81], v[16:17], v[137:138]
	v_fma_f64 v[16:17], v[82:83], v[16:17], -v[18:19]
	;; [unrolled: 2-line block ×11, first 2 shown]
	v_fma_f64 v[48:49], v[127:128], v[56:57], -v[70:71]
	v_fma_f64 v[50:51], v[125:126], v[56:57], v[58:59]
	v_add_f64_e64 v[26:27], v[72:73], -v[26:27]
	v_add_f64_e64 v[28:29], v[74:75], -v[28:29]
	;; [unrolled: 1-line block ×16, first 2 shown]
	v_fma_f64 v[72:73], v[72:73], 2.0, -v[26:27]
	v_fma_f64 v[74:75], v[74:75], 2.0, -v[28:29]
	;; [unrolled: 1-line block ×3, first 2 shown]
	v_add_f64_e64 v[54:55], v[28:29], -v[30:31]
	v_add_f64_e32 v[52:53], v[26:27], v[40:41]
	v_fma_f64 v[30:31], v[76:77], 2.0, -v[30:31]
	v_fma_f64 v[12:13], v[12:13], 2.0, -v[40:41]
	v_add_f64_e64 v[58:59], v[36:37], -v[6:7]
	v_add_f64_e32 v[56:57], v[2:3], v[38:39]
	v_add_f64_e64 v[66:67], v[32:33], -v[34:35]
	v_add_f64_e32 v[62:63], v[42:43], v[44:45]
	v_fma_f64 v[40:41], v[64:65], 2.0, -v[2:3]
	v_fma_f64 v[6:7], v[18:19], 2.0, -v[6:7]
	;; [unrolled: 1-line block ×4, first 2 shown]
	v_add_f64_e32 v[70:71], v[10:11], v[48:49]
	v_add_f64_e64 v[78:79], v[46:47], -v[50:51]
	v_fma_f64 v[0:1], v[0:1], 2.0, -v[32:33]
	v_fma_f64 v[14:15], v[14:15], 2.0, -v[34:35]
	;; [unrolled: 1-line block ×9, first 2 shown]
	v_add_f64_e64 v[30:31], v[72:73], -v[30:31]
	v_add_f64_e64 v[12:13], v[74:75], -v[12:13]
	v_fma_f64 v[36:37], v[36:37], 2.0, -v[58:59]
	v_fma_f64 v[2:3], v[2:3], 2.0, -v[56:57]
	;; [unrolled: 1-line block ×4, first 2 shown]
	v_fma_f64 v[44:45], v[56:57], s[2:3], v[52:53]
	v_add_f64_e64 v[6:7], v[40:41], -v[6:7]
	v_add_f64_e64 v[18:19], v[4:5], -v[18:19]
	v_fma_f64 v[10:11], v[10:11], 2.0, -v[70:71]
	v_fma_f64 v[42:43], v[46:47], 2.0, -v[78:79]
	v_fma_f64 v[46:47], v[58:59], s[2:3], v[54:55]
	v_add_f64_e64 v[14:15], v[20:21], -v[14:15]
	v_add_f64_e64 v[16:17], v[0:1], -v[16:17]
	v_fma_f64 v[48:49], v[70:71], s[2:3], v[62:63]
	v_fma_f64 v[50:51], v[78:79], s[2:3], v[66:67]
	v_add_f64_e64 v[24:25], v[8:9], -v[24:25]
	v_add_f64_e64 v[22:23], v[34:35], -v[22:23]
	v_fma_f64 v[72:73], v[72:73], 2.0, -v[30:31]
	v_fma_f64 v[74:75], v[74:75], 2.0, -v[12:13]
	v_fma_f64 v[64:65], v[36:37], s[0:1], v[28:29]
	v_fma_f64 v[60:61], v[2:3], s[0:1], v[26:27]
	;; [unrolled: 1-line block ×3, first 2 shown]
	v_fma_f64 v[40:41], v[40:41], 2.0, -v[6:7]
	v_fma_f64 v[4:5], v[4:5], 2.0, -v[18:19]
	v_add_f64_e32 v[80:81], v[30:31], v[18:19]
	v_fma_f64 v[68:69], v[10:11], s[0:1], v[38:39]
	v_fma_f64 v[76:77], v[42:43], s[0:1], v[32:33]
	v_add_f64_e64 v[82:83], v[12:13], -v[6:7]
	v_fma_f64 v[46:47], v[56:57], s[0:1], v[46:47]
	v_fma_f64 v[20:21], v[20:21], 2.0, -v[14:15]
	v_fma_f64 v[48:49], v[78:79], s[2:3], v[48:49]
	v_fma_f64 v[50:51], v[70:71], s[0:1], v[50:51]
	v_add_f64_e32 v[6:7], v[14:15], v[24:25]
	v_add_f64_e64 v[18:19], v[16:17], -v[22:23]
	v_fma_f64 v[0:1], v[0:1], 2.0, -v[16:17]
	v_fma_f64 v[22:23], v[34:35], 2.0, -v[22:23]
	v_fma_f64 v[8:9], v[8:9], 2.0, -v[24:25]
	v_fma_f64 v[58:59], v[2:3], s[0:1], v[64:65]
	v_fma_f64 v[56:57], v[36:37], s[2:3], v[60:61]
	v_fma_f64 v[52:53], v[52:53], 2.0, -v[44:45]
	v_add_f64_e64 v[40:41], v[72:73], -v[40:41]
	v_fma_f64 v[60:61], v[30:31], 2.0, -v[80:81]
	v_fma_f64 v[24:25], v[42:43], s[2:3], v[68:69]
	v_fma_f64 v[34:35], v[10:11], s[0:1], v[76:77]
	v_fma_f64 v[64:65], v[12:13], 2.0, -v[82:83]
	v_add_f64_e64 v[42:43], v[74:75], -v[4:5]
	v_fma_f64 v[54:55], v[54:55], 2.0, -v[46:47]
	v_fma_f64 v[30:31], v[62:63], 2.0, -v[48:49]
	;; [unrolled: 1-line block ×5, first 2 shown]
	v_add_f64_e64 v[10:11], v[20:21], -v[22:23]
	v_add_f64_e64 v[8:9], v[0:1], -v[8:9]
	v_fma_f64 v[2:3], v[6:7], s[2:3], v[80:81]
	v_fma_f64 v[4:5], v[18:19], s[2:3], v[82:83]
	;; [unrolled: 1-line block ×3, first 2 shown]
	v_fma_f64 v[66:67], v[28:29], 2.0, -v[58:59]
	v_fma_f64 v[62:63], v[26:27], 2.0, -v[56:57]
	v_fma_f64 v[26:27], v[50:51], s[12:13], v[46:47]
	v_fma_f64 v[68:69], v[72:73], 2.0, -v[40:41]
	v_fma_f64 v[36:37], v[38:39], 2.0, -v[24:25]
	;; [unrolled: 1-line block ×3, first 2 shown]
	v_fma_f64 v[76:77], v[24:25], s[6:7], v[56:57]
	v_fma_f64 v[70:71], v[74:75], 2.0, -v[42:43]
	v_fma_f64 v[78:79], v[34:35], s[6:7], v[58:59]
	s_wait_alu 0xfffe
	v_fma_f64 v[72:73], v[30:31], s[10:11], v[52:53]
	v_fma_f64 v[32:33], v[14:15], s[0:1], v[60:61]
	;; [unrolled: 1-line block ×4, first 2 shown]
	v_fma_f64 v[84:85], v[20:21], 2.0, -v[10:11]
	v_fma_f64 v[86:87], v[0:1], 2.0, -v[8:9]
	v_fma_f64 v[0:1], v[18:19], s[2:3], v[2:3]
	v_fma_f64 v[2:3], v[6:7], s[0:1], v[4:5]
	;; [unrolled: 1-line block ×3, first 2 shown]
	v_add_f64_e32 v[8:9], v[40:41], v[8:9]
	v_add_f64_e64 v[10:11], v[42:43], -v[10:11]
	v_fma_f64 v[6:7], v[48:49], s[10:11], v[26:27]
	v_fma_f64 v[88:89], v[36:37], s[4:5], v[62:63]
	;; [unrolled: 1-line block ×9, first 2 shown]
	v_add_f64_e64 v[24:25], v[68:69], -v[84:85]
	v_add_f64_e64 v[26:27], v[70:71], -v[86:87]
	v_fma_f64 v[32:33], v[80:81], 2.0, -v[0:1]
	v_fma_f64 v[34:35], v[82:83], 2.0, -v[2:3]
	v_fma_f64 v[40:41], v[40:41], 2.0, -v[8:9]
	v_fma_f64 v[42:43], v[42:43], 2.0, -v[10:11]
	v_fma_f64 v[38:39], v[46:47], 2.0, -v[6:7]
	v_fma_f64 v[28:29], v[28:29], s[6:7], v[88:89]
	v_fma_f64 v[30:31], v[36:37], s[10:11], v[90:91]
	v_fma_f64 v[36:37], v[44:45], 2.0, -v[4:5]
	v_fma_f64 v[48:49], v[52:53], 2.0, -v[16:17]
	;; [unrolled: 1-line block ×11, first 2 shown]
	ds_store_b128 v112, v[0:3] offset:17920
	ds_store_b128 v112, v[4:7] offset:19200
	;; [unrolled: 1-line block ×14, first 2 shown]
	ds_store_b128 v112, v[56:59]
	ds_store_b128 v112, v[60:63] offset:1280
	global_wb scope:SCOPE_SE
	s_wait_dscnt 0x0
	s_barrier_signal -1
	s_barrier_wait -1
	global_inv scope:SCOPE_SE
	s_and_saveexec_b32 s0, vcc_lo
	s_cbranch_execz .LBB0_23
; %bb.22:
	v_lshl_add_u32 v34, v108, 4, 0
	v_dual_mov_b32 v109, 0 :: v_dual_add_nc_u32 v8, 0x50, v108
	v_add_co_u32 v36, vcc_lo, s8, v110
	ds_load_b128 v[0:3], v34
	ds_load_b128 v[4:7], v34 offset:1280
	v_dual_mov_b32 v9, v109 :: v_dual_add_nc_u32 v12, 0xa0, v108
	v_lshlrev_b64_e32 v[10:11], 4, v[108:109]
	s_wait_alu 0xfffd
	v_add_co_ci_u32_e32 v37, vcc_lo, s9, v111, vcc_lo
	s_delay_alu instid0(VALU_DEP_3) | instskip(SKIP_1) | instid1(VALU_DEP_4)
	v_lshlrev_b64_e32 v[8:9], 4, v[8:9]
	v_dual_mov_b32 v13, v109 :: v_dual_add_nc_u32 v14, 0xf0, v108
	v_add_co_u32 v10, vcc_lo, v36, v10
	s_wait_alu 0xfffd
	v_add_co_ci_u32_e32 v11, vcc_lo, v37, v11, vcc_lo
	s_delay_alu instid0(VALU_DEP_4)
	v_add_co_u32 v8, vcc_lo, v36, v8
	s_wait_alu 0xfffd
	v_add_co_ci_u32_e32 v9, vcc_lo, v37, v9, vcc_lo
	v_lshlrev_b64_e32 v[12:13], 4, v[12:13]
	v_mov_b32_e32 v15, v109
	v_dual_mov_b32 v23, v109 :: v_dual_add_nc_u32 v24, 0x1e0, v108
	s_wait_dscnt 0x1
	global_store_b128 v[10:11], v[0:3], off
	s_wait_dscnt 0x0
	global_store_b128 v[8:9], v[4:7], off
	v_dual_mov_b32 v9, v109 :: v_dual_add_nc_u32 v8, 0x140, v108
	v_add_nc_u32_e32 v22, 0x190, v108
	v_add_co_u32 v16, vcc_lo, v36, v12
	s_wait_alu 0xfffd
	v_add_co_ci_u32_e32 v17, vcc_lo, v37, v13, vcc_lo
	ds_load_b128 v[0:3], v34 offset:2560
	ds_load_b128 v[4:7], v34 offset:3840
	v_lshlrev_b64_e32 v[18:19], 4, v[14:15]
	v_lshlrev_b64_e32 v[20:21], 4, v[8:9]
	ds_load_b128 v[8:11], v34 offset:5120
	ds_load_b128 v[12:15], v34 offset:6400
	v_lshlrev_b64_e32 v[22:23], 4, v[22:23]
	v_mov_b32_e32 v25, v109
	v_add_co_u32 v18, vcc_lo, v36, v18
	s_wait_alu 0xfffd
	v_add_co_ci_u32_e32 v19, vcc_lo, v37, v19, vcc_lo
	v_add_co_u32 v20, vcc_lo, v36, v20
	s_wait_alu 0xfffd
	v_add_co_ci_u32_e32 v21, vcc_lo, v37, v21, vcc_lo
	;; [unrolled: 3-line block ×3, first 2 shown]
	s_wait_dscnt 0x3
	global_store_b128 v[16:17], v[0:3], off
	s_wait_dscnt 0x2
	global_store_b128 v[18:19], v[4:7], off
	s_wait_dscnt 0x1
	global_store_b128 v[20:21], v[8:11], off
	s_wait_dscnt 0x0
	global_store_b128 v[22:23], v[12:15], off
	v_add_nc_u32_e32 v8, 0x230, v108
	v_lshlrev_b64_e32 v[0:1], 4, v[24:25]
	v_dual_mov_b32 v9, v109 :: v_dual_add_nc_u32 v10, 0x280, v108
	v_dual_mov_b32 v11, v109 :: v_dual_add_nc_u32 v22, 0x2d0, v108
	;; [unrolled: 1-line block ×3, first 2 shown]
	s_delay_alu instid0(VALU_DEP_4)
	v_add_co_u32 v16, vcc_lo, v36, v0
	s_wait_alu 0xfffd
	v_add_co_ci_u32_e32 v17, vcc_lo, v37, v1, vcc_lo
	ds_load_b128 v[0:3], v34 offset:7680
	ds_load_b128 v[4:7], v34 offset:8960
	v_lshlrev_b64_e32 v[18:19], 4, v[8:9]
	v_lshlrev_b64_e32 v[20:21], 4, v[10:11]
	ds_load_b128 v[8:11], v34 offset:10240
	ds_load_b128 v[12:15], v34 offset:11520
	v_lshlrev_b64_e32 v[22:23], 4, v[22:23]
	v_add_co_u32 v18, vcc_lo, v36, v18
	s_wait_alu 0xfffd
	v_add_co_ci_u32_e32 v19, vcc_lo, v37, v19, vcc_lo
	v_add_co_u32 v20, vcc_lo, v36, v20
	s_wait_alu 0xfffd
	v_add_co_ci_u32_e32 v21, vcc_lo, v37, v21, vcc_lo
	v_add_co_u32 v22, vcc_lo, v36, v22
	s_wait_dscnt 0x3
	global_store_b128 v[16:17], v[0:3], off
	s_wait_dscnt 0x2
	global_store_b128 v[18:19], v[4:7], off
	v_dual_mov_b32 v3, v109 :: v_dual_add_nc_u32 v2, 0x370, v108
	s_wait_alu 0xfffd
	v_add_co_ci_u32_e32 v23, vcc_lo, v37, v23, vcc_lo
	v_lshlrev_b64_e32 v[0:1], 4, v[24:25]
	s_wait_dscnt 0x1
	global_store_b128 v[20:21], v[8:11], off
	s_wait_dscnt 0x0
	global_store_b128 v[22:23], v[12:15], off
	v_lshlrev_b64_e32 v[8:9], 4, v[2:3]
	v_dual_mov_b32 v11, v109 :: v_dual_add_nc_u32 v10, 0x3c0, v108
	v_add_co_u32 v24, vcc_lo, v36, v0
	s_wait_alu 0xfffd
	v_add_co_ci_u32_e32 v25, vcc_lo, v37, v1, vcc_lo
	s_delay_alu instid0(VALU_DEP_4)
	v_add_co_u32 v26, vcc_lo, v36, v8
	s_wait_alu 0xfffd
	v_add_co_ci_u32_e32 v27, vcc_lo, v37, v9, vcc_lo
	v_lshlrev_b64_e32 v[8:9], 4, v[10:11]
	v_dual_mov_b32 v17, v109 :: v_dual_add_nc_u32 v16, 0x410, v108
	v_dual_mov_b32 v19, v109 :: v_dual_add_nc_u32 v18, 0x460, v108
	ds_load_b128 v[0:3], v34 offset:12800
	ds_load_b128 v[4:7], v34 offset:14080
	v_add_co_u32 v28, vcc_lo, v36, v8
	s_wait_alu 0xfffd
	v_add_co_ci_u32_e32 v29, vcc_lo, v37, v9, vcc_lo
	ds_load_b128 v[8:11], v34 offset:15360
	ds_load_b128 v[12:15], v34 offset:16640
	v_lshlrev_b64_e32 v[30:31], 4, v[16:17]
	v_lshlrev_b64_e32 v[32:33], 4, v[18:19]
	ds_load_b128 v[16:19], v34 offset:17920
	ds_load_b128 v[20:23], v34 offset:19200
	v_add_nc_u32_e32 v108, 0x4b0, v108
	v_add_co_u32 v30, vcc_lo, v36, v30
	s_delay_alu instid0(VALU_DEP_2)
	v_lshlrev_b64_e32 v[34:35], 4, v[108:109]
	s_wait_alu 0xfffd
	v_add_co_ci_u32_e32 v31, vcc_lo, v37, v31, vcc_lo
	v_add_co_u32 v32, vcc_lo, v36, v32
	s_wait_alu 0xfffd
	v_add_co_ci_u32_e32 v33, vcc_lo, v37, v33, vcc_lo
	v_add_co_u32 v34, vcc_lo, v36, v34
	s_wait_alu 0xfffd
	v_add_co_ci_u32_e32 v35, vcc_lo, v37, v35, vcc_lo
	s_wait_dscnt 0x5
	global_store_b128 v[24:25], v[0:3], off
	s_wait_dscnt 0x4
	global_store_b128 v[26:27], v[4:7], off
	s_wait_dscnt 0x3
	global_store_b128 v[28:29], v[8:11], off
	s_wait_dscnt 0x2
	global_store_b128 v[30:31], v[12:15], off
	s_wait_dscnt 0x1
	global_store_b128 v[32:33], v[16:19], off
	s_wait_dscnt 0x0
	global_store_b128 v[34:35], v[20:23], off
.LBB0_23:
	s_nop 0
	s_sendmsg sendmsg(MSG_DEALLOC_VGPRS)
	s_endpgm
	.section	.rodata,"a",@progbits
	.p2align	6, 0x0
	.amdhsa_kernel fft_rtc_back_len1280_factors_16_5_16_wgs_80_tpt_80_halfLds_dp_ip_CI_unitstride_sbrr_C2R_dirReg
		.amdhsa_group_segment_fixed_size 0
		.amdhsa_private_segment_fixed_size 0
		.amdhsa_kernarg_size 88
		.amdhsa_user_sgpr_count 2
		.amdhsa_user_sgpr_dispatch_ptr 0
		.amdhsa_user_sgpr_queue_ptr 0
		.amdhsa_user_sgpr_kernarg_segment_ptr 1
		.amdhsa_user_sgpr_dispatch_id 0
		.amdhsa_user_sgpr_private_segment_size 0
		.amdhsa_wavefront_size32 1
		.amdhsa_uses_dynamic_stack 0
		.amdhsa_enable_private_segment 0
		.amdhsa_system_sgpr_workgroup_id_x 1
		.amdhsa_system_sgpr_workgroup_id_y 0
		.amdhsa_system_sgpr_workgroup_id_z 0
		.amdhsa_system_sgpr_workgroup_info 0
		.amdhsa_system_vgpr_workitem_id 0
		.amdhsa_next_free_vgpr 160
		.amdhsa_next_free_sgpr 32
		.amdhsa_reserve_vcc 1
		.amdhsa_float_round_mode_32 0
		.amdhsa_float_round_mode_16_64 0
		.amdhsa_float_denorm_mode_32 3
		.amdhsa_float_denorm_mode_16_64 3
		.amdhsa_fp16_overflow 0
		.amdhsa_workgroup_processor_mode 1
		.amdhsa_memory_ordered 1
		.amdhsa_forward_progress 0
		.amdhsa_round_robin_scheduling 0
		.amdhsa_exception_fp_ieee_invalid_op 0
		.amdhsa_exception_fp_denorm_src 0
		.amdhsa_exception_fp_ieee_div_zero 0
		.amdhsa_exception_fp_ieee_overflow 0
		.amdhsa_exception_fp_ieee_underflow 0
		.amdhsa_exception_fp_ieee_inexact 0
		.amdhsa_exception_int_div_zero 0
	.end_amdhsa_kernel
	.text
.Lfunc_end0:
	.size	fft_rtc_back_len1280_factors_16_5_16_wgs_80_tpt_80_halfLds_dp_ip_CI_unitstride_sbrr_C2R_dirReg, .Lfunc_end0-fft_rtc_back_len1280_factors_16_5_16_wgs_80_tpt_80_halfLds_dp_ip_CI_unitstride_sbrr_C2R_dirReg
                                        ; -- End function
	.section	.AMDGPU.csdata,"",@progbits
; Kernel info:
; codeLenInByte = 10744
; NumSgprs: 34
; NumVgprs: 160
; ScratchSize: 0
; MemoryBound: 0
; FloatMode: 240
; IeeeMode: 1
; LDSByteSize: 0 bytes/workgroup (compile time only)
; SGPRBlocks: 4
; VGPRBlocks: 19
; NumSGPRsForWavesPerEU: 34
; NumVGPRsForWavesPerEU: 160
; Occupancy: 9
; WaveLimiterHint : 1
; COMPUTE_PGM_RSRC2:SCRATCH_EN: 0
; COMPUTE_PGM_RSRC2:USER_SGPR: 2
; COMPUTE_PGM_RSRC2:TRAP_HANDLER: 0
; COMPUTE_PGM_RSRC2:TGID_X_EN: 1
; COMPUTE_PGM_RSRC2:TGID_Y_EN: 0
; COMPUTE_PGM_RSRC2:TGID_Z_EN: 0
; COMPUTE_PGM_RSRC2:TIDIG_COMP_CNT: 0
	.text
	.p2alignl 7, 3214868480
	.fill 96, 4, 3214868480
	.type	__hip_cuid_c186fbab0b87c34d,@object ; @__hip_cuid_c186fbab0b87c34d
	.section	.bss,"aw",@nobits
	.globl	__hip_cuid_c186fbab0b87c34d
__hip_cuid_c186fbab0b87c34d:
	.byte	0                               ; 0x0
	.size	__hip_cuid_c186fbab0b87c34d, 1

	.ident	"AMD clang version 19.0.0git (https://github.com/RadeonOpenCompute/llvm-project roc-6.4.0 25133 c7fe45cf4b819c5991fe208aaa96edf142730f1d)"
	.section	".note.GNU-stack","",@progbits
	.addrsig
	.addrsig_sym __hip_cuid_c186fbab0b87c34d
	.amdgpu_metadata
---
amdhsa.kernels:
  - .args:
      - .actual_access:  read_only
        .address_space:  global
        .offset:         0
        .size:           8
        .value_kind:     global_buffer
      - .offset:         8
        .size:           8
        .value_kind:     by_value
      - .actual_access:  read_only
        .address_space:  global
        .offset:         16
        .size:           8
        .value_kind:     global_buffer
      - .actual_access:  read_only
        .address_space:  global
        .offset:         24
        .size:           8
        .value_kind:     global_buffer
      - .offset:         32
        .size:           8
        .value_kind:     by_value
      - .actual_access:  read_only
        .address_space:  global
        .offset:         40
        .size:           8
        .value_kind:     global_buffer
      - .actual_access:  read_only
        .address_space:  global
        .offset:         48
        .size:           8
        .value_kind:     global_buffer
      - .offset:         56
        .size:           4
        .value_kind:     by_value
      - .actual_access:  read_only
        .address_space:  global
        .offset:         64
        .size:           8
        .value_kind:     global_buffer
      - .actual_access:  read_only
        .address_space:  global
        .offset:         72
        .size:           8
        .value_kind:     global_buffer
      - .address_space:  global
        .offset:         80
        .size:           8
        .value_kind:     global_buffer
    .group_segment_fixed_size: 0
    .kernarg_segment_align: 8
    .kernarg_segment_size: 88
    .language:       OpenCL C
    .language_version:
      - 2
      - 0
    .max_flat_workgroup_size: 80
    .name:           fft_rtc_back_len1280_factors_16_5_16_wgs_80_tpt_80_halfLds_dp_ip_CI_unitstride_sbrr_C2R_dirReg
    .private_segment_fixed_size: 0
    .sgpr_count:     34
    .sgpr_spill_count: 0
    .symbol:         fft_rtc_back_len1280_factors_16_5_16_wgs_80_tpt_80_halfLds_dp_ip_CI_unitstride_sbrr_C2R_dirReg.kd
    .uniform_work_group_size: 1
    .uses_dynamic_stack: false
    .vgpr_count:     160
    .vgpr_spill_count: 0
    .wavefront_size: 32
    .workgroup_processor_mode: 1
amdhsa.target:   amdgcn-amd-amdhsa--gfx1201
amdhsa.version:
  - 1
  - 2
...

	.end_amdgpu_metadata
